;; amdgpu-corpus repo=ROCm/rocFFT kind=compiled arch=gfx906 opt=O3
	.text
	.amdgcn_target "amdgcn-amd-amdhsa--gfx906"
	.amdhsa_code_object_version 6
	.protected	fft_rtc_fwd_len1215_factors_5_3_3_3_3_3_wgs_243_tpt_243_halfLds_half_ip_CI_sbrr_dirReg ; -- Begin function fft_rtc_fwd_len1215_factors_5_3_3_3_3_3_wgs_243_tpt_243_halfLds_half_ip_CI_sbrr_dirReg
	.globl	fft_rtc_fwd_len1215_factors_5_3_3_3_3_3_wgs_243_tpt_243_halfLds_half_ip_CI_sbrr_dirReg
	.p2align	8
	.type	fft_rtc_fwd_len1215_factors_5_3_3_3_3_3_wgs_243_tpt_243_halfLds_half_ip_CI_sbrr_dirReg,@function
fft_rtc_fwd_len1215_factors_5_3_3_3_3_3_wgs_243_tpt_243_halfLds_half_ip_CI_sbrr_dirReg: ; @fft_rtc_fwd_len1215_factors_5_3_3_3_3_3_wgs_243_tpt_243_halfLds_half_ip_CI_sbrr_dirReg
; %bb.0:
	s_load_dwordx2 s[2:3], s[4:5], 0x18
	s_load_dwordx4 s[8:11], s[4:5], 0x0
	s_load_dwordx2 s[14:15], s[4:5], 0x50
	v_mul_u32_u24_e32 v1, 0x10e, v0
	v_add_u32_sdwa v5, s6, v1 dst_sel:DWORD dst_unused:UNUSED_PAD src0_sel:DWORD src1_sel:WORD_1
	s_waitcnt lgkmcnt(0)
	s_load_dwordx2 s[12:13], s[2:3], 0x0
	v_cmp_lt_u64_e64 s[0:1], s[10:11], 2
	v_mov_b32_e32 v3, 0
	v_mov_b32_e32 v1, 0
	;; [unrolled: 1-line block ×3, first 2 shown]
	s_and_b64 vcc, exec, s[0:1]
	v_mov_b32_e32 v2, 0
	s_cbranch_vccnz .LBB0_8
; %bb.1:
	s_load_dwordx2 s[0:1], s[4:5], 0x10
	s_add_u32 s6, s2, 8
	s_addc_u32 s7, s3, 0
	v_mov_b32_e32 v1, 0
	v_mov_b32_e32 v2, 0
	s_waitcnt lgkmcnt(0)
	s_add_u32 s16, s0, 8
	s_addc_u32 s17, s1, 0
	s_mov_b64 s[18:19], 1
.LBB0_2:                                ; =>This Inner Loop Header: Depth=1
	s_load_dwordx2 s[20:21], s[16:17], 0x0
                                        ; implicit-def: $vgpr7_vgpr8
	s_waitcnt lgkmcnt(0)
	v_or_b32_e32 v4, s21, v6
	v_cmp_ne_u64_e32 vcc, 0, v[3:4]
	s_and_saveexec_b64 s[0:1], vcc
	s_xor_b64 s[22:23], exec, s[0:1]
	s_cbranch_execz .LBB0_4
; %bb.3:                                ;   in Loop: Header=BB0_2 Depth=1
	v_cvt_f32_u32_e32 v4, s20
	v_cvt_f32_u32_e32 v7, s21
	s_sub_u32 s0, 0, s20
	s_subb_u32 s1, 0, s21
	v_mac_f32_e32 v4, 0x4f800000, v7
	v_rcp_f32_e32 v4, v4
	v_mul_f32_e32 v4, 0x5f7ffffc, v4
	v_mul_f32_e32 v7, 0x2f800000, v4
	v_trunc_f32_e32 v7, v7
	v_mac_f32_e32 v4, 0xcf800000, v7
	v_cvt_u32_f32_e32 v7, v7
	v_cvt_u32_f32_e32 v4, v4
	v_mul_lo_u32 v8, s0, v7
	v_mul_hi_u32 v9, s0, v4
	v_mul_lo_u32 v11, s1, v4
	v_mul_lo_u32 v10, s0, v4
	v_add_u32_e32 v8, v9, v8
	v_add_u32_e32 v8, v8, v11
	v_mul_hi_u32 v9, v4, v10
	v_mul_lo_u32 v11, v4, v8
	v_mul_hi_u32 v13, v4, v8
	v_mul_hi_u32 v12, v7, v10
	v_mul_lo_u32 v10, v7, v10
	v_mul_hi_u32 v14, v7, v8
	v_add_co_u32_e32 v9, vcc, v9, v11
	v_addc_co_u32_e32 v11, vcc, 0, v13, vcc
	v_mul_lo_u32 v8, v7, v8
	v_add_co_u32_e32 v9, vcc, v9, v10
	v_addc_co_u32_e32 v9, vcc, v11, v12, vcc
	v_addc_co_u32_e32 v10, vcc, 0, v14, vcc
	v_add_co_u32_e32 v8, vcc, v9, v8
	v_addc_co_u32_e32 v9, vcc, 0, v10, vcc
	v_add_co_u32_e32 v4, vcc, v4, v8
	v_addc_co_u32_e32 v7, vcc, v7, v9, vcc
	v_mul_lo_u32 v8, s0, v7
	v_mul_hi_u32 v9, s0, v4
	v_mul_lo_u32 v10, s1, v4
	v_mul_lo_u32 v11, s0, v4
	v_add_u32_e32 v8, v9, v8
	v_add_u32_e32 v8, v8, v10
	v_mul_lo_u32 v12, v4, v8
	v_mul_hi_u32 v13, v4, v11
	v_mul_hi_u32 v14, v4, v8
	;; [unrolled: 1-line block ×3, first 2 shown]
	v_mul_lo_u32 v11, v7, v11
	v_mul_hi_u32 v9, v7, v8
	v_add_co_u32_e32 v12, vcc, v13, v12
	v_addc_co_u32_e32 v13, vcc, 0, v14, vcc
	v_mul_lo_u32 v8, v7, v8
	v_add_co_u32_e32 v11, vcc, v12, v11
	v_addc_co_u32_e32 v10, vcc, v13, v10, vcc
	v_addc_co_u32_e32 v9, vcc, 0, v9, vcc
	v_add_co_u32_e32 v8, vcc, v10, v8
	v_addc_co_u32_e32 v9, vcc, 0, v9, vcc
	v_add_co_u32_e32 v4, vcc, v4, v8
	v_addc_co_u32_e32 v9, vcc, v7, v9, vcc
	v_mad_u64_u32 v[7:8], s[0:1], v5, v9, 0
	v_mul_hi_u32 v10, v5, v4
	v_add_co_u32_e32 v11, vcc, v10, v7
	v_addc_co_u32_e32 v12, vcc, 0, v8, vcc
	v_mad_u64_u32 v[7:8], s[0:1], v6, v4, 0
	v_mad_u64_u32 v[9:10], s[0:1], v6, v9, 0
	v_add_co_u32_e32 v4, vcc, v11, v7
	v_addc_co_u32_e32 v4, vcc, v12, v8, vcc
	v_addc_co_u32_e32 v7, vcc, 0, v10, vcc
	v_add_co_u32_e32 v4, vcc, v4, v9
	v_addc_co_u32_e32 v9, vcc, 0, v7, vcc
	v_mul_lo_u32 v10, s21, v4
	v_mul_lo_u32 v11, s20, v9
	v_mad_u64_u32 v[7:8], s[0:1], s20, v4, 0
	v_add3_u32 v8, v8, v11, v10
	v_sub_u32_e32 v10, v6, v8
	v_mov_b32_e32 v11, s21
	v_sub_co_u32_e32 v7, vcc, v5, v7
	v_subb_co_u32_e64 v10, s[0:1], v10, v11, vcc
	v_subrev_co_u32_e64 v11, s[0:1], s20, v7
	v_subbrev_co_u32_e64 v10, s[0:1], 0, v10, s[0:1]
	v_cmp_le_u32_e64 s[0:1], s21, v10
	v_cndmask_b32_e64 v12, 0, -1, s[0:1]
	v_cmp_le_u32_e64 s[0:1], s20, v11
	v_cndmask_b32_e64 v11, 0, -1, s[0:1]
	v_cmp_eq_u32_e64 s[0:1], s21, v10
	v_cndmask_b32_e64 v10, v12, v11, s[0:1]
	v_add_co_u32_e64 v11, s[0:1], 2, v4
	v_addc_co_u32_e64 v12, s[0:1], 0, v9, s[0:1]
	v_add_co_u32_e64 v13, s[0:1], 1, v4
	v_addc_co_u32_e64 v14, s[0:1], 0, v9, s[0:1]
	v_subb_co_u32_e32 v8, vcc, v6, v8, vcc
	v_cmp_ne_u32_e64 s[0:1], 0, v10
	v_cmp_le_u32_e32 vcc, s21, v8
	v_cndmask_b32_e64 v10, v14, v12, s[0:1]
	v_cndmask_b32_e64 v12, 0, -1, vcc
	v_cmp_le_u32_e32 vcc, s20, v7
	v_cndmask_b32_e64 v7, 0, -1, vcc
	v_cmp_eq_u32_e32 vcc, s21, v8
	v_cndmask_b32_e32 v7, v12, v7, vcc
	v_cmp_ne_u32_e32 vcc, 0, v7
	v_cndmask_b32_e64 v7, v13, v11, s[0:1]
	v_cndmask_b32_e32 v8, v9, v10, vcc
	v_cndmask_b32_e32 v7, v4, v7, vcc
.LBB0_4:                                ;   in Loop: Header=BB0_2 Depth=1
	s_andn2_saveexec_b64 s[0:1], s[22:23]
	s_cbranch_execz .LBB0_6
; %bb.5:                                ;   in Loop: Header=BB0_2 Depth=1
	v_cvt_f32_u32_e32 v4, s20
	s_sub_i32 s22, 0, s20
	v_rcp_iflag_f32_e32 v4, v4
	v_mul_f32_e32 v4, 0x4f7ffffe, v4
	v_cvt_u32_f32_e32 v4, v4
	v_mul_lo_u32 v7, s22, v4
	v_mul_hi_u32 v7, v4, v7
	v_add_u32_e32 v4, v4, v7
	v_mul_hi_u32 v4, v5, v4
	v_mul_lo_u32 v7, v4, s20
	v_add_u32_e32 v8, 1, v4
	v_sub_u32_e32 v7, v5, v7
	v_subrev_u32_e32 v9, s20, v7
	v_cmp_le_u32_e32 vcc, s20, v7
	v_cndmask_b32_e32 v7, v7, v9, vcc
	v_cndmask_b32_e32 v4, v4, v8, vcc
	v_add_u32_e32 v8, 1, v4
	v_cmp_le_u32_e32 vcc, s20, v7
	v_cndmask_b32_e32 v7, v4, v8, vcc
	v_mov_b32_e32 v8, v3
.LBB0_6:                                ;   in Loop: Header=BB0_2 Depth=1
	s_or_b64 exec, exec, s[0:1]
	v_mul_lo_u32 v4, v8, s20
	v_mul_lo_u32 v11, v7, s21
	v_mad_u64_u32 v[9:10], s[0:1], v7, s20, 0
	s_load_dwordx2 s[0:1], s[6:7], 0x0
	s_add_u32 s18, s18, 1
	v_add3_u32 v4, v10, v11, v4
	v_sub_co_u32_e32 v5, vcc, v5, v9
	v_subb_co_u32_e32 v4, vcc, v6, v4, vcc
	s_waitcnt lgkmcnt(0)
	v_mul_lo_u32 v4, s0, v4
	v_mul_lo_u32 v6, s1, v5
	v_mad_u64_u32 v[1:2], s[0:1], s0, v5, v[1:2]
	s_addc_u32 s19, s19, 0
	s_add_u32 s6, s6, 8
	v_add3_u32 v2, v6, v2, v4
	v_mov_b32_e32 v4, s10
	v_mov_b32_e32 v5, s11
	s_addc_u32 s7, s7, 0
	v_cmp_ge_u64_e32 vcc, s[18:19], v[4:5]
	s_add_u32 s16, s16, 8
	s_addc_u32 s17, s17, 0
	s_cbranch_vccnz .LBB0_9
; %bb.7:                                ;   in Loop: Header=BB0_2 Depth=1
	v_mov_b32_e32 v5, v7
	v_mov_b32_e32 v6, v8
	s_branch .LBB0_2
.LBB0_8:
	v_mov_b32_e32 v8, v6
	v_mov_b32_e32 v7, v5
.LBB0_9:
	s_lshl_b64 s[0:1], s[10:11], 3
	s_add_u32 s0, s2, s0
	s_addc_u32 s1, s3, s1
	s_load_dwordx2 s[2:3], s[0:1], 0x0
	s_load_dwordx2 s[6:7], s[4:5], 0x20
	s_waitcnt lgkmcnt(0)
	v_mad_u64_u32 v[1:2], s[0:1], s2, v7, v[1:2]
	s_mov_b32 s0, 0x10db20b
	v_mul_lo_u32 v3, s2, v8
	v_mul_lo_u32 v4, s3, v7
	v_mul_hi_u32 v5, v0, s0
	v_cmp_gt_u64_e32 vcc, s[6:7], v[7:8]
	v_cmp_le_u64_e64 s[0:1], s[6:7], v[7:8]
	v_add3_u32 v2, v4, v2, v3
	v_mul_u32_u24_e32 v3, 0xf3, v5
	v_sub_u32_e32 v4, v0, v3
                                        ; implicit-def: $vgpr5
	s_and_saveexec_b64 s[2:3], s[0:1]
	s_xor_b64 s[0:1], exec, s[2:3]
; %bb.10:
	v_add_u32_e32 v5, 0xf3, v4
; %bb.11:
	s_or_saveexec_b64 s[2:3], s[0:1]
	v_lshlrev_b64 v[0:1], 2, v[1:2]
                                        ; implicit-def: $vgpr11
                                        ; implicit-def: $vgpr18
                                        ; implicit-def: $vgpr13
                                        ; implicit-def: $vgpr15
                                        ; implicit-def: $vgpr14
                                        ; implicit-def: $vgpr17
                                        ; implicit-def: $vgpr16
                                        ; implicit-def: $vgpr19
                                        ; implicit-def: $vgpr20
                                        ; implicit-def: $vgpr2
	s_xor_b64 exec, exec, s[2:3]
	s_cbranch_execz .LBB0_13
; %bb.12:
	v_mad_u64_u32 v[2:3], s[0:1], s12, v4, 0
	v_add_u32_e32 v5, 0xf3, v4
	v_mov_b32_e32 v9, s15
	v_mad_u64_u32 v[6:7], s[0:1], s13, v4, v[3:4]
	v_mad_u64_u32 v[7:8], s[0:1], s12, v5, 0
	v_mov_b32_e32 v3, v6
	v_add_co_u32_e64 v15, s[0:1], s14, v0
	v_mov_b32_e32 v6, v8
	v_addc_co_u32_e64 v16, s[0:1], v9, v1, s[0:1]
	v_mad_u64_u32 v[8:9], s[0:1], s13, v5, v[6:7]
	v_add_u32_e32 v13, 0x1e6, v4
	v_mad_u64_u32 v[9:10], s[0:1], s12, v13, 0
	v_lshlrev_b64 v[2:3], 2, v[2:3]
	v_add_u32_e32 v17, 0x2d9, v4
	v_add_co_u32_e64 v11, s[0:1], v15, v2
	v_mov_b32_e32 v6, v10
	v_addc_co_u32_e64 v12, s[0:1], v16, v3, s[0:1]
	v_lshlrev_b64 v[2:3], 2, v[7:8]
	v_mad_u64_u32 v[6:7], s[0:1], s13, v13, v[6:7]
	v_mad_u64_u32 v[7:8], s[0:1], s12, v17, 0
	v_add_co_u32_e64 v13, s[0:1], v15, v2
	v_mov_b32_e32 v10, v6
	v_mov_b32_e32 v6, v8
	v_addc_co_u32_e64 v14, s[0:1], v16, v3, s[0:1]
	v_lshlrev_b64 v[2:3], 2, v[9:10]
	v_mad_u64_u32 v[8:9], s[0:1], s13, v17, v[6:7]
	v_add_u32_e32 v17, 0x3cc, v4
	v_mad_u64_u32 v[9:10], s[0:1], s12, v17, 0
	v_add_co_u32_e64 v20, s[0:1], v15, v2
	v_mov_b32_e32 v6, v10
	v_addc_co_u32_e64 v21, s[0:1], v16, v3, s[0:1]
	v_lshlrev_b64 v[2:3], 2, v[7:8]
	v_mad_u64_u32 v[6:7], s[0:1], s13, v17, v[6:7]
	v_add_co_u32_e64 v7, s[0:1], v15, v2
	v_mov_b32_e32 v10, v6
	v_addc_co_u32_e64 v8, s[0:1], v16, v3, s[0:1]
	v_lshlrev_b64 v[2:3], 2, v[9:10]
	v_add_co_u32_e64 v9, s[0:1], v15, v2
	v_addc_co_u32_e64 v10, s[0:1], v16, v3, s[0:1]
	global_load_dword v2, v[11:12], off
	global_load_dword v19, v[13:14], off
	;; [unrolled: 1-line block ×5, first 2 shown]
	s_waitcnt vmcnt(4)
	v_lshrrev_b32_e32 v20, 16, v2
	s_waitcnt vmcnt(3)
	v_lshrrev_b32_e32 v16, 16, v19
	;; [unrolled: 2-line block ×5, first 2 shown]
.LBB0_13:
	s_or_b64 exec, exec, s[2:3]
	v_add_f16_e32 v3, v19, v2
	v_add_f16_e32 v3, v17, v3
	;; [unrolled: 1-line block ×5, first 2 shown]
	v_fma_f16 v3, v3, -0.5, v2
	v_sub_f16_e32 v7, v16, v11
	s_movk_i32 s5, 0x3b9c
	s_mov_b32 s7, 0xbb9c
	v_fma_f16 v6, v7, s5, v3
	v_sub_f16_e32 v9, v14, v13
	s_movk_i32 s4, 0x38b4
	v_sub_f16_e32 v10, v19, v17
	v_sub_f16_e32 v12, v18, v15
	v_fma_f16 v3, v7, s7, v3
	s_mov_b32 s10, 0xb8b4
	v_fma_f16 v6, v9, s4, v6
	v_add_f16_e32 v10, v12, v10
	s_movk_i32 s6, 0x34f2
	v_fma_f16 v3, v9, s10, v3
	v_fma_f16 v12, v10, s6, v6
	;; [unrolled: 1-line block ×3, first 2 shown]
	v_add_f16_e32 v3, v18, v19
	v_fma_f16 v2, v3, -0.5, v2
	v_fma_f16 v3, v9, s7, v2
	v_sub_f16_e32 v10, v17, v19
	v_sub_f16_e32 v21, v15, v18
	v_fma_f16 v2, v9, s5, v2
	v_fma_f16 v3, v7, s4, v3
	v_add_f16_e32 v10, v21, v10
	v_fma_f16 v2, v7, s10, v2
	v_fma_f16 v3, v10, s6, v3
	;; [unrolled: 1-line block ×3, first 2 shown]
	v_mad_u32_u24 v21, v4, 10, 0
	v_pack_b32_f16 v3, v3, v7
	v_pack_b32_f16 v2, v8, v12
	ds_write_b64 v21, v[2:3]
	ds_write_b16 v21, v6 offset:8
	v_lshlrev_b32_e32 v2, 3, v4
	v_sub_u32_e32 v3, 0, v2
	v_sub_u32_e32 v2, v21, v2
	s_waitcnt lgkmcnt(0)
	s_barrier
	ds_read_u16 v8, v2
	ds_read_u16 v10, v2 offset:810
	ds_read_u16 v9, v2 offset:1620
	s_movk_i32 s0, 0xa2
	v_cmp_gt_u32_e64 s[0:1], s0, v4
	v_add_u32_e32 v2, v21, v3
	v_lshl_add_u32 v3, v5, 1, 0
                                        ; implicit-def: $vgpr12
	s_and_saveexec_b64 s[2:3], s[0:1]
	s_cbranch_execz .LBB0_15
; %bb.14:
	ds_read_u16 v6, v2 offset:1296
	ds_read_u16 v7, v3
	ds_read_u16 v12, v2 offset:2106
.LBB0_15:
	s_or_b64 exec, exec, s[2:3]
	v_add_f16_e32 v23, v13, v14
	v_fma_f16 v23, v23, -0.5, v20
	v_sub_f16_e32 v18, v19, v18
	v_fma_f16 v19, v18, s7, v23
	v_sub_f16_e32 v17, v17, v15
	v_fma_f16 v15, v17, s10, v19
	v_sub_f16_e32 v19, v16, v14
	v_sub_f16_e32 v24, v11, v13
	v_add_f16_e32 v19, v24, v19
	v_add_f16_e32 v22, v16, v20
	v_fma_f16 v24, v19, s6, v15
	v_fma_f16 v15, v18, s5, v23
	v_add_f16_e32 v22, v14, v22
	v_fma_f16 v15, v17, s4, v15
	v_add_f16_e32 v22, v13, v22
	;; [unrolled: 2-line block ×3, first 2 shown]
	v_add_f16_e32 v22, v11, v22
	v_fma_f16 v19, v19, -0.5, v20
	v_sub_f16_e32 v14, v14, v16
	v_sub_f16_e32 v11, v13, v11
	v_fma_f16 v20, v17, s5, v19
	v_add_f16_e32 v11, v11, v14
	v_fma_f16 v14, v17, s7, v19
	v_fma_f16 v20, v18, s10, v20
	v_fma_f16 v14, v18, s4, v14
	v_fma_f16 v13, v11, s6, v20
	v_fma_f16 v11, v11, s6, v14
	v_pack_b32_f16 v14, v13, v11
	v_pack_b32_f16 v13, v22, v24
	s_waitcnt lgkmcnt(0)
	s_barrier
	ds_write_b64 v21, v[13:14]
	ds_write_b16 v21, v15 offset:8
	s_waitcnt lgkmcnt(0)
	s_barrier
	ds_read_u16 v13, v2
	ds_read_u16 v17, v2 offset:810
	ds_read_u16 v14, v2 offset:1620
                                        ; implicit-def: $vgpr19
	s_and_saveexec_b64 s[2:3], s[0:1]
	s_cbranch_execz .LBB0_17
; %bb.16:
	ds_read_u16 v15, v2 offset:1296
	ds_read_u16 v11, v3
	ds_read_u16 v19, v2 offset:2106
.LBB0_17:
	s_or_b64 exec, exec, s[2:3]
	s_movk_i32 s2, 0xcd
	v_mul_lo_u16_sdwa v16, v4, s2 dst_sel:DWORD dst_unused:UNUSED_PAD src0_sel:BYTE_0 src1_sel:DWORD
	v_lshrrev_b16_e32 v16, 10, v16
	v_mul_lo_u16_e32 v18, 5, v16
	s_mov_b32 s2, 0xcccd
	v_sub_u16_e32 v18, v4, v18
	v_mov_b32_e32 v20, 3
	v_mul_u32_u24_sdwa v21, v5, s2 dst_sel:DWORD dst_unused:UNUSED_PAD src0_sel:WORD_0 src1_sel:DWORD
	v_lshlrev_b32_sdwa v20, v20, v18 dst_sel:DWORD dst_unused:UNUSED_PAD src0_sel:DWORD src1_sel:BYTE_0
	v_lshrrev_b32_e32 v21, 18, v21
	global_load_dwordx2 v[24:25], v20, s[8:9]
	v_mul_lo_u16_e32 v20, 5, v21
	v_sub_u16_e32 v22, v5, v20
	v_lshlrev_b32_e32 v20, 3, v22
	global_load_dwordx2 v[26:27], v20, s[8:9]
	v_mov_b32_e32 v20, 1
	v_mul_u32_u24_e32 v23, 30, v16
	v_lshlrev_b32_sdwa v18, v20, v18 dst_sel:DWORD dst_unused:UNUSED_PAD src0_sel:DWORD src1_sel:BYTE_0
	v_add3_u32 v18, 0, v23, v18
	v_mul_lo_u16_e32 v16, 15, v21
	s_movk_i32 s2, 0x3aee
	s_mov_b32 s3, 0xbaee
	v_lshlrev_b32_e32 v22, 1, v22
	s_waitcnt vmcnt(0) lgkmcnt(0)
	s_barrier
	v_mul_f16_sdwa v20, v17, v24 dst_sel:DWORD dst_unused:UNUSED_PAD src0_sel:DWORD src1_sel:WORD_1
	v_mul_f16_sdwa v23, v10, v24 dst_sel:DWORD dst_unused:UNUSED_PAD src0_sel:DWORD src1_sel:WORD_1
	;; [unrolled: 1-line block ×8, first 2 shown]
	v_fma_f16 v21, v10, v24, -v20
	v_fma_f16 v24, v17, v24, v23
	v_fma_f16 v23, v9, v25, -v28
	v_fma_f16 v17, v6, v26, -v30
	v_fma_f16 v20, v15, v26, v31
	v_fma_f16 v15, v12, v27, -v32
	v_fma_f16 v25, v14, v25, v29
	v_fma_f16 v19, v19, v27, v33
	v_add_f16_e32 v9, v21, v23
	v_add_f16_e32 v14, v17, v15
	;; [unrolled: 1-line block ×3, first 2 shown]
	v_sub_f16_e32 v10, v24, v25
	v_add_f16_e32 v12, v7, v17
	v_sub_f16_e32 v26, v20, v19
	v_fma_f16 v8, v9, -0.5, v8
	v_fma_f16 v7, v14, -0.5, v7
	v_add_f16_e32 v27, v6, v23
	v_add_f16_e32 v6, v12, v15
	v_fma_f16 v12, v10, s2, v8
	v_fma_f16 v10, v10, s3, v8
	v_fma_f16 v8, v26, s2, v7
	v_fma_f16 v9, v26, s3, v7
	ds_write_b16 v18, v27
	ds_write_b16 v18, v12 offset:10
	ds_write_b16 v18, v10 offset:20
	s_and_saveexec_b64 s[2:3], s[0:1]
	s_cbranch_execz .LBB0_19
; %bb.18:
	v_lshlrev_b32_e32 v7, 1, v16
	v_add3_u32 v7, 0, v22, v7
	ds_write_b16 v7, v6
	ds_write_b16 v7, v8 offset:10
	ds_write_b16 v7, v9 offset:20
.LBB0_19:
	s_or_b64 exec, exec, s[2:3]
	s_waitcnt lgkmcnt(0)
	s_barrier
	ds_read_u16 v10, v2
	ds_read_u16 v14, v2 offset:810
	ds_read_u16 v12, v2 offset:1620
	s_and_saveexec_b64 s[2:3], s[0:1]
	s_cbranch_execz .LBB0_21
; %bb.20:
	ds_read_u16 v8, v2 offset:1296
	ds_read_u16 v6, v3
	ds_read_u16 v9, v2 offset:2106
.LBB0_21:
	s_or_b64 exec, exec, s[2:3]
	v_add_f16_e32 v7, v13, v24
	v_add_f16_e32 v26, v7, v25
	;; [unrolled: 1-line block ×3, first 2 shown]
	v_fma_f16 v7, v7, -0.5, v13
	v_sub_f16_e32 v13, v21, v23
	s_mov_b32 s2, 0xbaee
	s_movk_i32 s3, 0x3aee
	v_fma_f16 v21, v13, s2, v7
	v_fma_f16 v13, v13, s3, v7
	v_add_f16_e32 v7, v11, v20
	v_add_f16_e32 v7, v7, v19
	;; [unrolled: 1-line block ×3, first 2 shown]
	v_fma_f16 v19, v19, -0.5, v11
	v_sub_f16_e32 v15, v17, v15
	v_fma_f16 v11, v15, s2, v19
	v_fma_f16 v15, v15, s3, v19
	s_waitcnt lgkmcnt(0)
	s_barrier
	ds_write_b16 v18, v26
	ds_write_b16 v18, v21 offset:10
	ds_write_b16 v18, v13 offset:20
	s_and_saveexec_b64 s[2:3], s[0:1]
	s_cbranch_execz .LBB0_23
; %bb.22:
	v_lshlrev_b32_e32 v13, 1, v16
	v_add3_u32 v13, 0, v22, v13
	ds_write_b16 v13, v7
	ds_write_b16 v13, v11 offset:10
	ds_write_b16 v13, v15 offset:20
.LBB0_23:
	s_or_b64 exec, exec, s[2:3]
	s_waitcnt lgkmcnt(0)
	s_barrier
	ds_read_u16 v13, v2
	ds_read_u16 v18, v2 offset:810
	ds_read_u16 v17, v2 offset:1620
	s_and_saveexec_b64 s[2:3], s[0:1]
	s_cbranch_execz .LBB0_25
; %bb.24:
	ds_read_u16 v11, v2 offset:1296
	ds_read_u16 v7, v3
	ds_read_u16 v15, v2 offset:2106
.LBB0_25:
	s_or_b64 exec, exec, s[2:3]
	s_movk_i32 s2, 0x89
	v_mul_lo_u16_sdwa v16, v4, s2 dst_sel:DWORD dst_unused:UNUSED_PAD src0_sel:BYTE_0 src1_sel:DWORD
	v_lshrrev_b16_e32 v16, 11, v16
	v_mul_lo_u16_e32 v19, 15, v16
	s_mov_b32 s2, 0x8889
	v_sub_u16_e32 v19, v4, v19
	v_mov_b32_e32 v20, 3
	v_mul_u32_u24_sdwa v21, v5, s2 dst_sel:DWORD dst_unused:UNUSED_PAD src0_sel:WORD_0 src1_sel:DWORD
	v_lshlrev_b32_sdwa v20, v20, v19 dst_sel:DWORD dst_unused:UNUSED_PAD src0_sel:DWORD src1_sel:BYTE_0
	v_lshrrev_b32_e32 v21, 19, v21
	global_load_dwordx2 v[24:25], v20, s[8:9] offset:40
	v_mul_lo_u16_e32 v20, 15, v21
	v_sub_u16_e32 v22, v5, v20
	v_lshlrev_b32_e32 v20, 3, v22
	global_load_dwordx2 v[26:27], v20, s[8:9] offset:40
	v_mov_b32_e32 v20, 1
	v_mul_u32_u24_e32 v23, 0x5a, v16
	v_lshlrev_b32_sdwa v19, v20, v19 dst_sel:DWORD dst_unused:UNUSED_PAD src0_sel:DWORD src1_sel:BYTE_0
	v_add3_u32 v19, 0, v23, v19
	v_mul_lo_u16_e32 v16, 45, v21
	s_movk_i32 s2, 0x3aee
	s_mov_b32 s3, 0xbaee
	v_lshlrev_b32_e32 v22, 1, v22
	s_waitcnt vmcnt(0) lgkmcnt(0)
	s_barrier
	v_mul_f16_sdwa v20, v18, v24 dst_sel:DWORD dst_unused:UNUSED_PAD src0_sel:DWORD src1_sel:WORD_1
	v_mul_f16_sdwa v23, v14, v24 dst_sel:DWORD dst_unused:UNUSED_PAD src0_sel:DWORD src1_sel:WORD_1
	v_mul_f16_sdwa v28, v17, v25 dst_sel:DWORD dst_unused:UNUSED_PAD src0_sel:DWORD src1_sel:WORD_1
	v_mul_f16_sdwa v29, v12, v25 dst_sel:DWORD dst_unused:UNUSED_PAD src0_sel:DWORD src1_sel:WORD_1
	v_mul_f16_sdwa v30, v11, v26 dst_sel:DWORD dst_unused:UNUSED_PAD src0_sel:DWORD src1_sel:WORD_1
	v_mul_f16_sdwa v32, v15, v27 dst_sel:DWORD dst_unused:UNUSED_PAD src0_sel:DWORD src1_sel:WORD_1
	v_mul_f16_sdwa v31, v8, v26 dst_sel:DWORD dst_unused:UNUSED_PAD src0_sel:DWORD src1_sel:WORD_1
	v_mul_f16_sdwa v33, v9, v27 dst_sel:DWORD dst_unused:UNUSED_PAD src0_sel:DWORD src1_sel:WORD_1
	v_fma_f16 v21, v14, v24, -v20
	v_fma_f16 v24, v18, v24, v23
	v_fma_f16 v23, v12, v25, -v28
	v_fma_f16 v25, v17, v25, v29
	v_fma_f16 v17, v8, v26, -v30
	v_fma_f16 v18, v9, v27, -v32
	v_fma_f16 v20, v11, v26, v31
	v_fma_f16 v15, v15, v27, v33
	v_add_f16_e32 v9, v21, v23
	v_add_f16_e32 v14, v17, v18
	v_add_f16_e32 v8, v10, v21
	v_sub_f16_e32 v11, v24, v25
	v_add_f16_e32 v12, v6, v17
	v_sub_f16_e32 v26, v20, v15
	v_fma_f16 v9, v9, -0.5, v10
	v_fma_f16 v6, v14, -0.5, v6
	v_add_f16_e32 v27, v8, v23
	v_add_f16_e32 v8, v12, v18
	v_fma_f16 v10, v11, s2, v9
	v_fma_f16 v11, v11, s3, v9
	;; [unrolled: 1-line block ×4, first 2 shown]
	ds_write_b16 v19, v27
	ds_write_b16 v19, v10 offset:30
	ds_write_b16 v19, v11 offset:60
	s_and_saveexec_b64 s[2:3], s[0:1]
	s_cbranch_execz .LBB0_27
; %bb.26:
	v_lshlrev_b32_e32 v6, 1, v16
	v_add3_u32 v6, 0, v22, v6
	ds_write_b16 v6, v8
	ds_write_b16 v6, v9 offset:30
	ds_write_b16 v6, v14 offset:60
.LBB0_27:
	s_or_b64 exec, exec, s[2:3]
	s_waitcnt lgkmcnt(0)
	s_barrier
	ds_read_u16 v10, v2
	ds_read_u16 v12, v2 offset:810
	ds_read_u16 v11, v2 offset:1620
	s_and_saveexec_b64 s[2:3], s[0:1]
	s_cbranch_execz .LBB0_29
; %bb.28:
	ds_read_u16 v9, v2 offset:1296
	ds_read_u16 v8, v3
	ds_read_u16 v14, v2 offset:2106
.LBB0_29:
	s_or_b64 exec, exec, s[2:3]
	v_add_f16_e32 v6, v13, v24
	v_add_f16_e32 v26, v6, v25
	;; [unrolled: 1-line block ×3, first 2 shown]
	v_fma_f16 v6, v6, -0.5, v13
	v_sub_f16_e32 v13, v21, v23
	s_mov_b32 s2, 0xbaee
	s_movk_i32 s3, 0x3aee
	v_fma_f16 v21, v13, s2, v6
	v_fma_f16 v13, v13, s3, v6
	v_add_f16_e32 v6, v7, v20
	v_add_f16_e32 v6, v6, v15
	;; [unrolled: 1-line block ×3, first 2 shown]
	v_fma_f16 v15, v15, -0.5, v7
	v_sub_f16_e32 v17, v17, v18
	v_fma_f16 v7, v17, s2, v15
	v_fma_f16 v18, v17, s3, v15
	s_waitcnt lgkmcnt(0)
	s_barrier
	ds_write_b16 v19, v26
	ds_write_b16 v19, v21 offset:30
	ds_write_b16 v19, v13 offset:60
	s_and_saveexec_b64 s[2:3], s[0:1]
	s_cbranch_execz .LBB0_31
; %bb.30:
	v_lshlrev_b32_e32 v13, 1, v16
	v_add3_u32 v13, 0, v22, v13
	ds_write_b16 v13, v6
	ds_write_b16 v13, v7 offset:30
	ds_write_b16 v13, v18 offset:60
.LBB0_31:
	s_or_b64 exec, exec, s[2:3]
	s_waitcnt lgkmcnt(0)
	s_barrier
	ds_read_u16 v13, v2
	ds_read_u16 v17, v2 offset:810
	ds_read_u16 v15, v2 offset:1620
	s_and_saveexec_b64 s[2:3], s[0:1]
	s_cbranch_execz .LBB0_33
; %bb.32:
	ds_read_u16 v7, v2 offset:1296
	ds_read_u16 v6, v3
	ds_read_u16 v18, v2 offset:2106
.LBB0_33:
	s_or_b64 exec, exec, s[2:3]
	s_movk_i32 s2, 0x2d83
	v_mul_u32_u24_sdwa v16, v5, s2 dst_sel:DWORD dst_unused:UNUSED_PAD src0_sel:WORD_0 src1_sel:DWORD
	s_movk_i32 s2, 0x6d
	v_mul_lo_u16_sdwa v20, v4, s2 dst_sel:DWORD dst_unused:UNUSED_PAD src0_sel:BYTE_0 src1_sel:DWORD
	v_lshrrev_b32_e32 v16, 19, v16
	v_sub_u16_sdwa v21, v4, v20 dst_sel:DWORD dst_unused:UNUSED_PAD src0_sel:DWORD src1_sel:BYTE_1
	v_mul_lo_u16_e32 v19, 45, v16
	v_lshrrev_b16_e32 v21, 1, v21
	v_sub_u16_e32 v26, v5, v19
	v_and_b32_e32 v21, 0x7f, v21
	v_lshlrev_b32_e32 v19, 3, v26
	v_add_u16_sdwa v20, v21, v20 dst_sel:DWORD dst_unused:UNUSED_PAD src0_sel:DWORD src1_sel:BYTE_1
	global_load_dwordx2 v[22:23], v19, s[8:9] offset:160
	v_lshrrev_b16_e32 v20, 5, v20
	v_mul_lo_u16_e32 v21, 45, v20
	v_mov_b32_e32 v19, 3
	v_sub_u16_e32 v21, v4, v21
	v_lshlrev_b32_sdwa v19, v19, v21 dst_sel:DWORD dst_unused:UNUSED_PAD src0_sel:DWORD src1_sel:BYTE_0
	global_load_dwordx2 v[24:25], v19, s[8:9] offset:160
	v_mov_b32_e32 v19, 1
	v_mul_u32_u24_e32 v20, 0x10e, v20
	v_lshlrev_b32_sdwa v19, v19, v21 dst_sel:DWORD dst_unused:UNUSED_PAD src0_sel:DWORD src1_sel:BYTE_0
	v_add3_u32 v19, 0, v20, v19
	s_movk_i32 s2, 0x3aee
	s_mov_b32 s3, 0xbaee
	s_waitcnt vmcnt(0) lgkmcnt(0)
	s_barrier
	v_mul_f16_sdwa v20, v7, v22 dst_sel:DWORD dst_unused:UNUSED_PAD src0_sel:DWORD src1_sel:WORD_1
	v_mul_f16_sdwa v21, v9, v22 dst_sel:DWORD dst_unused:UNUSED_PAD src0_sel:DWORD src1_sel:WORD_1
	;; [unrolled: 1-line block ×4, first 2 shown]
	v_fma_f16 v20, v9, v22, -v20
	v_fma_f16 v22, v7, v22, v21
	v_fma_f16 v21, v14, v23, -v27
	v_fma_f16 v18, v18, v23, v28
	v_add_f16_e32 v9, v20, v21
	v_sub_f16_e32 v14, v22, v18
	v_fma_f16 v9, v9, -0.5, v8
	v_add_f16_e32 v7, v8, v20
	v_mul_f16_sdwa v23, v17, v24 dst_sel:DWORD dst_unused:UNUSED_PAD src0_sel:DWORD src1_sel:WORD_1
	v_fma_f16 v8, v14, s2, v9
	v_fma_f16 v9, v14, s3, v9
	v_mul_f16_sdwa v14, v12, v24 dst_sel:DWORD dst_unused:UNUSED_PAD src0_sel:DWORD src1_sel:WORD_1
	v_mul_f16_sdwa v27, v15, v25 dst_sel:DWORD dst_unused:UNUSED_PAD src0_sel:DWORD src1_sel:WORD_1
	;; [unrolled: 1-line block ×3, first 2 shown]
	v_fma_f16 v23, v12, v24, -v23
	v_fma_f16 v24, v17, v24, v14
	v_fma_f16 v17, v11, v25, -v27
	v_fma_f16 v25, v15, v25, v28
	v_add_f16_e32 v12, v23, v17
	v_add_f16_e32 v11, v10, v23
	v_sub_f16_e32 v14, v24, v25
	v_fma_f16 v10, v12, -0.5, v10
	v_add_f16_e32 v11, v11, v17
	v_fma_f16 v12, v14, s2, v10
	v_add_f16_e32 v7, v7, v21
	v_fma_f16 v10, v14, s3, v10
	ds_write_b16 v19, v11
	ds_write_b16 v19, v12 offset:90
	ds_write_b16 v19, v10 offset:180
	v_lshlrev_b32_e32 v12, 1, v26
	s_and_saveexec_b64 s[2:3], s[0:1]
	s_cbranch_execz .LBB0_35
; %bb.34:
	v_mul_lo_u16_e32 v10, 0x87, v16
	v_lshlrev_b32_e32 v10, 1, v10
	v_add3_u32 v10, 0, v12, v10
	ds_write_b16 v10, v7
	ds_write_b16 v10, v8 offset:90
	ds_write_b16 v10, v9 offset:180
.LBB0_35:
	s_or_b64 exec, exec, s[2:3]
	s_waitcnt lgkmcnt(0)
	s_barrier
	ds_read_u16 v11, v2
	ds_read_u16 v15, v2 offset:810
	ds_read_u16 v14, v2 offset:1620
	s_and_saveexec_b64 s[2:3], s[0:1]
	s_cbranch_execz .LBB0_37
; %bb.36:
	ds_read_u16 v8, v2 offset:1296
	ds_read_u16 v7, v3
	ds_read_u16 v9, v2 offset:2106
.LBB0_37:
	s_or_b64 exec, exec, s[2:3]
	v_add_f16_e32 v10, v13, v24
	v_add_f16_e32 v26, v10, v25
	;; [unrolled: 1-line block ×3, first 2 shown]
	v_fma_f16 v10, v10, -0.5, v13
	v_sub_f16_e32 v13, v23, v17
	s_mov_b32 s2, 0xbaee
	s_movk_i32 s3, 0x3aee
	v_fma_f16 v17, v13, s2, v10
	v_fma_f16 v23, v13, s3, v10
	v_add_f16_e32 v10, v6, v22
	v_add_f16_e32 v13, v22, v18
	;; [unrolled: 1-line block ×3, first 2 shown]
	v_fma_f16 v13, v13, -0.5, v6
	v_sub_f16_e32 v18, v20, v21
	v_fma_f16 v6, v18, s2, v13
	v_fma_f16 v13, v18, s3, v13
	s_waitcnt lgkmcnt(0)
	s_barrier
	ds_write_b16 v19, v26
	ds_write_b16 v19, v17 offset:90
	ds_write_b16 v19, v23 offset:180
	s_and_saveexec_b64 s[2:3], s[0:1]
	s_cbranch_execz .LBB0_39
; %bb.38:
	v_mul_lo_u16_e32 v16, 0x87, v16
	v_lshlrev_b32_e32 v16, 1, v16
	v_add3_u32 v12, 0, v12, v16
	ds_write_b16 v12, v10
	ds_write_b16 v12, v6 offset:90
	ds_write_b16 v12, v13 offset:180
.LBB0_39:
	s_or_b64 exec, exec, s[2:3]
	s_waitcnt lgkmcnt(0)
	s_barrier
	ds_read_u16 v12, v2
	ds_read_u16 v19, v2 offset:810
	ds_read_u16 v17, v2 offset:1620
	s_and_saveexec_b64 s[2:3], s[0:1]
	s_cbranch_execz .LBB0_41
; %bb.40:
	ds_read_u16 v6, v2 offset:1296
	ds_read_u16 v10, v3
	ds_read_u16 v13, v2 offset:2106
.LBB0_41:
	s_or_b64 exec, exec, s[2:3]
	s_movk_i32 s2, 0x87
	v_add_u32_e32 v16, 0xffffff79, v4
	v_cmp_gt_u32_e64 s[2:3], s2, v4
	v_cndmask_b32_e64 v16, v16, v4, s[2:3]
	s_movk_i32 s2, 0x795d
	v_lshlrev_b32_e32 v20, 1, v16
	v_mov_b32_e32 v21, 0
	v_mul_u32_u24_sdwa v16, v5, s2 dst_sel:DWORD dst_unused:UNUSED_PAD src0_sel:WORD_0 src1_sel:DWORD
	v_lshlrev_b64 v[21:22], 2, v[20:21]
	v_lshrrev_b32_e32 v16, 22, v16
	v_mul_lo_u16_e32 v23, 0x87, v16
	v_mov_b32_e32 v18, s9
	v_sub_u16_e32 v27, v5, v23
	v_add_co_u32_e64 v21, s[2:3], s8, v21
	v_lshlrev_b32_e32 v23, 3, v27
	v_addc_co_u32_e64 v22, s[2:3], v18, v22, s[2:3]
	global_load_dwordx2 v[23:24], v23, s[8:9] offset:520
	s_movk_i32 s2, 0x86
	global_load_dwordx2 v[25:26], v[21:22], off offset:520
	v_mov_b32_e32 v18, 0x32a
	v_cmp_lt_u32_e64 s[2:3], s2, v4
	v_cndmask_b32_e64 v18, 0, v18, s[2:3]
	v_add3_u32 v18, 0, v18, v20
	s_movk_i32 s4, 0x3aee
	s_mov_b32 s5, 0xbaee
	s_waitcnt vmcnt(0) lgkmcnt(0)
	s_barrier
	v_mul_f16_sdwa v20, v6, v23 dst_sel:DWORD dst_unused:UNUSED_PAD src0_sel:DWORD src1_sel:WORD_1
	v_mul_f16_sdwa v21, v8, v23 dst_sel:DWORD dst_unused:UNUSED_PAD src0_sel:DWORD src1_sel:WORD_1
	;; [unrolled: 1-line block ×8, first 2 shown]
	v_fma_f16 v20, v8, v23, -v20
	v_fma_f16 v22, v6, v23, v21
	v_fma_f16 v21, v9, v24, -v28
	v_fma_f16 v23, v13, v24, v29
	v_fma_f16 v9, v15, v25, -v30
	v_fma_f16 v24, v14, v26, -v32
	v_fma_f16 v19, v19, v25, v31
	v_fma_f16 v25, v17, v26, v33
	v_add_f16_e32 v8, v20, v21
	v_add_f16_e32 v15, v9, v24
	;; [unrolled: 1-line block ×3, first 2 shown]
	v_sub_f16_e32 v13, v22, v23
	v_add_f16_e32 v14, v11, v9
	v_sub_f16_e32 v17, v19, v25
	v_fma_f16 v8, v8, -0.5, v7
	v_fma_f16 v11, v15, -0.5, v11
	v_add_f16_e32 v6, v6, v21
	v_add_f16_e32 v14, v14, v24
	v_fma_f16 v7, v13, s4, v8
	v_fma_f16 v8, v13, s5, v8
	;; [unrolled: 1-line block ×4, first 2 shown]
	v_lshlrev_b32_e32 v17, 1, v27
	ds_write_b16 v18, v14
	ds_write_b16 v18, v13 offset:270
	ds_write_b16 v18, v11 offset:540
	s_and_saveexec_b64 s[2:3], s[0:1]
	s_cbranch_execz .LBB0_43
; %bb.42:
	v_mul_lo_u16_e32 v11, 0x195, v16
	v_lshlrev_b32_e32 v11, 1, v11
	v_add3_u32 v11, 0, v17, v11
	ds_write_b16 v11, v6
	ds_write_b16 v11, v7 offset:270
	ds_write_b16 v11, v8 offset:540
.LBB0_43:
	s_or_b64 exec, exec, s[2:3]
	s_waitcnt lgkmcnt(0)
	s_barrier
	ds_read_u16 v13, v2
	ds_read_u16 v14, v2 offset:810
	ds_read_u16 v15, v2 offset:1620
	s_and_saveexec_b64 s[2:3], s[0:1]
	s_cbranch_execz .LBB0_45
; %bb.44:
	ds_read_u16 v7, v2 offset:1296
	ds_read_u16 v6, v3
	ds_read_u16 v8, v2 offset:2106
.LBB0_45:
	s_or_b64 exec, exec, s[2:3]
	v_add_f16_e32 v11, v12, v19
	v_add_f16_e32 v26, v11, v25
	;; [unrolled: 1-line block ×3, first 2 shown]
	v_fma_f16 v11, v11, -0.5, v12
	v_sub_f16_e32 v9, v9, v24
	s_mov_b32 s2, 0xbaee
	s_movk_i32 s3, 0x3aee
	v_fma_f16 v12, v9, s2, v11
	v_fma_f16 v19, v9, s3, v11
	v_add_f16_e32 v11, v22, v23
	v_add_f16_e32 v9, v10, v22
	v_fma_f16 v11, v11, -0.5, v10
	v_sub_f16_e32 v20, v20, v21
	v_add_f16_e32 v9, v9, v23
	v_fma_f16 v10, v20, s2, v11
	v_fma_f16 v11, v20, s3, v11
	s_waitcnt lgkmcnt(0)
	s_barrier
	ds_write_b16 v18, v26
	ds_write_b16 v18, v12 offset:270
	ds_write_b16 v18, v19 offset:540
	s_and_saveexec_b64 s[2:3], s[0:1]
	s_cbranch_execz .LBB0_47
; %bb.46:
	v_mul_lo_u16_e32 v12, 0x195, v16
	v_lshlrev_b32_e32 v12, 1, v12
	v_add3_u32 v12, 0, v17, v12
	ds_write_b16 v12, v9
	ds_write_b16 v12, v10 offset:270
	ds_write_b16 v12, v11 offset:540
.LBB0_47:
	s_or_b64 exec, exec, s[2:3]
	s_waitcnt lgkmcnt(0)
	s_barrier
	ds_read_u16 v12, v2
	ds_read_u16 v16, v2 offset:810
	ds_read_u16 v17, v2 offset:1620
	s_and_saveexec_b64 s[2:3], s[0:1]
	s_cbranch_execz .LBB0_49
; %bb.48:
	ds_read_u16 v10, v2 offset:1296
	ds_read_u16 v9, v3
	ds_read_u16 v11, v2 offset:2106
.LBB0_49:
	s_or_b64 exec, exec, s[2:3]
	s_and_saveexec_b64 s[2:3], vcc
	s_cbranch_execz .LBB0_52
; %bb.50:
	v_lshlrev_b32_e32 v2, 1, v4
	v_mov_b32_e32 v3, 0
	v_lshlrev_b64 v[18:19], 2, v[2:3]
	v_mov_b32_e32 v2, s9
	v_add_co_u32_e32 v18, vcc, s8, v18
	v_addc_co_u32_e32 v19, vcc, v2, v19, vcc
	global_load_dwordx2 v[18:19], v[18:19], off offset:1600
	v_mad_u64_u32 v[20:21], s[4:5], s12, v4, 0
	v_add_u32_e32 v28, 0x195, v4
	v_add_u32_e32 v29, 0x32a, v4
	v_mad_u64_u32 v[22:23], s[4:5], s12, v28, 0
	v_mad_u64_u32 v[24:25], s[4:5], s12, v29, 0
	v_mov_b32_e32 v2, s15
	v_add_co_u32_e32 v0, vcc, s14, v0
	v_addc_co_u32_e32 v1, vcc, v2, v1, vcc
	v_mov_b32_e32 v2, v21
	v_mad_u64_u32 v[26:27], s[4:5], s13, v4, v[2:3]
	v_mov_b32_e32 v2, v23
	v_mov_b32_e32 v21, v25
	v_mad_u64_u32 v[27:28], s[4:5], s13, v28, v[2:3]
	v_mad_u64_u32 v[28:29], s[4:5], s13, v29, v[21:22]
	v_mov_b32_e32 v21, v26
	v_lshlrev_b64 v[20:21], 2, v[20:21]
	v_mov_b32_e32 v23, v27
	v_mov_b32_e32 v25, v28
	v_lshlrev_b64 v[22:23], 2, v[22:23]
	v_add_co_u32_e32 v20, vcc, v0, v20
	v_addc_co_u32_e32 v21, vcc, v1, v21, vcc
	s_movk_i32 s2, 0x3aee
	s_mov_b32 s3, 0xbaee
	v_lshlrev_b64 v[24:25], 2, v[24:25]
	v_add_co_u32_e32 v22, vcc, v0, v22
	v_addc_co_u32_e32 v23, vcc, v1, v23, vcc
	v_add_co_u32_e32 v24, vcc, v0, v24
	v_addc_co_u32_e32 v25, vcc, v1, v25, vcc
	s_waitcnt vmcnt(0) lgkmcnt(1)
	v_mul_f16_sdwa v2, v16, v18 dst_sel:DWORD dst_unused:UNUSED_PAD src0_sel:DWORD src1_sel:WORD_1
	s_waitcnt lgkmcnt(0)
	v_mul_f16_sdwa v26, v17, v19 dst_sel:DWORD dst_unused:UNUSED_PAD src0_sel:DWORD src1_sel:WORD_1
	v_mul_f16_sdwa v27, v14, v18 dst_sel:DWORD dst_unused:UNUSED_PAD src0_sel:DWORD src1_sel:WORD_1
	v_mul_f16_sdwa v28, v15, v19 dst_sel:DWORD dst_unused:UNUSED_PAD src0_sel:DWORD src1_sel:WORD_1
	v_fma_f16 v2, v14, v18, -v2
	v_fma_f16 v14, v15, v19, -v26
	v_fma_f16 v15, v16, v18, v27
	v_fma_f16 v16, v17, v19, v28
	v_sub_f16_e32 v17, v2, v14
	v_add_f16_e32 v18, v15, v16
	v_add_f16_e32 v19, v12, v15
	;; [unrolled: 1-line block ×4, first 2 shown]
	v_sub_f16_e32 v15, v15, v16
	v_fma_f16 v12, v18, -0.5, v12
	v_add_f16_e32 v16, v19, v16
	v_fma_f16 v13, v26, -0.5, v13
	v_add_f16_e32 v2, v2, v14
	v_fma_f16 v14, v17, s2, v12
	v_fma_f16 v12, v17, s3, v12
	v_fma_f16 v17, v15, s3, v13
	v_fma_f16 v13, v15, s2, v13
	v_pack_b32_f16 v2, v2, v16
	global_store_dword v[20:21], v2, off
	v_pack_b32_f16 v2, v13, v12
	v_pack_b32_f16 v12, v17, v14
	global_store_dword v[22:23], v2, off
	global_store_dword v[24:25], v12, off
	s_and_b64 exec, exec, s[0:1]
	s_cbranch_execz .LBB0_52
; %bb.51:
	v_add_u32_e32 v2, 0xffffff5e, v4
	v_cndmask_b32_e64 v2, v2, v5, s[0:1]
	v_lshlrev_b32_e32 v2, 1, v2
	v_lshlrev_b64 v[2:3], 2, v[2:3]
	v_mov_b32_e32 v5, s9
	v_add_co_u32_e32 v2, vcc, s8, v2
	v_addc_co_u32_e32 v3, vcc, v5, v3, vcc
	global_load_dwordx2 v[2:3], v[2:3], off offset:1600
	v_add_u32_e32 v16, 0xf3, v4
	v_add_u32_e32 v18, 0x288, v4
	;; [unrolled: 1-line block ×3, first 2 shown]
	v_mad_u64_u32 v[4:5], s[0:1], s12, v16, 0
	v_mad_u64_u32 v[12:13], s[0:1], s12, v18, 0
	;; [unrolled: 1-line block ×6, first 2 shown]
	v_mov_b32_e32 v5, v16
	v_lshlrev_b64 v[4:5], 2, v[4:5]
	v_mov_b32_e32 v13, v17
	v_lshlrev_b64 v[12:13], 2, v[12:13]
	v_add_co_u32_e32 v4, vcc, v0, v4
	v_mov_b32_e32 v15, v18
	v_addc_co_u32_e32 v5, vcc, v1, v5, vcc
	v_lshlrev_b64 v[14:15], 2, v[14:15]
	v_add_co_u32_e32 v12, vcc, v0, v12
	v_addc_co_u32_e32 v13, vcc, v1, v13, vcc
	v_add_co_u32_e32 v0, vcc, v0, v14
	v_addc_co_u32_e32 v1, vcc, v1, v15, vcc
	s_waitcnt vmcnt(0)
	v_mul_f16_sdwa v14, v10, v2 dst_sel:DWORD dst_unused:UNUSED_PAD src0_sel:DWORD src1_sel:WORD_1
	v_mul_f16_sdwa v15, v7, v2 dst_sel:DWORD dst_unused:UNUSED_PAD src0_sel:DWORD src1_sel:WORD_1
	;; [unrolled: 1-line block ×4, first 2 shown]
	v_fma_f16 v7, v7, v2, -v14
	v_fma_f16 v2, v10, v2, v15
	v_fma_f16 v8, v8, v3, -v16
	v_fma_f16 v3, v11, v3, v17
	v_add_f16_e32 v10, v6, v7
	v_add_f16_e32 v11, v7, v8
	v_sub_f16_e32 v14, v2, v3
	v_add_f16_e32 v15, v9, v2
	v_add_f16_e32 v2, v2, v3
	v_sub_f16_e32 v7, v7, v8
	v_add_f16_e32 v8, v10, v8
	v_fma_f16 v6, v11, -0.5, v6
	v_add_f16_e32 v3, v15, v3
	v_fma_f16 v2, v2, -0.5, v9
	v_fma_f16 v9, v14, s2, v6
	v_fma_f16 v10, v7, s3, v2
	v_pack_b32_f16 v3, v8, v3
	v_fma_f16 v6, v14, s3, v6
	v_fma_f16 v2, v7, s2, v2
	global_store_dword v[4:5], v3, off
	v_pack_b32_f16 v3, v9, v10
	v_pack_b32_f16 v2, v6, v2
	global_store_dword v[12:13], v3, off
	global_store_dword v[0:1], v2, off
.LBB0_52:
	s_endpgm
	.section	.rodata,"a",@progbits
	.p2align	6, 0x0
	.amdhsa_kernel fft_rtc_fwd_len1215_factors_5_3_3_3_3_3_wgs_243_tpt_243_halfLds_half_ip_CI_sbrr_dirReg
		.amdhsa_group_segment_fixed_size 0
		.amdhsa_private_segment_fixed_size 0
		.amdhsa_kernarg_size 88
		.amdhsa_user_sgpr_count 6
		.amdhsa_user_sgpr_private_segment_buffer 1
		.amdhsa_user_sgpr_dispatch_ptr 0
		.amdhsa_user_sgpr_queue_ptr 0
		.amdhsa_user_sgpr_kernarg_segment_ptr 1
		.amdhsa_user_sgpr_dispatch_id 0
		.amdhsa_user_sgpr_flat_scratch_init 0
		.amdhsa_user_sgpr_private_segment_size 0
		.amdhsa_uses_dynamic_stack 0
		.amdhsa_system_sgpr_private_segment_wavefront_offset 0
		.amdhsa_system_sgpr_workgroup_id_x 1
		.amdhsa_system_sgpr_workgroup_id_y 0
		.amdhsa_system_sgpr_workgroup_id_z 0
		.amdhsa_system_sgpr_workgroup_info 0
		.amdhsa_system_vgpr_workitem_id 0
		.amdhsa_next_free_vgpr 34
		.amdhsa_next_free_sgpr 24
		.amdhsa_reserve_vcc 1
		.amdhsa_reserve_flat_scratch 0
		.amdhsa_float_round_mode_32 0
		.amdhsa_float_round_mode_16_64 0
		.amdhsa_float_denorm_mode_32 3
		.amdhsa_float_denorm_mode_16_64 3
		.amdhsa_dx10_clamp 1
		.amdhsa_ieee_mode 1
		.amdhsa_fp16_overflow 0
		.amdhsa_exception_fp_ieee_invalid_op 0
		.amdhsa_exception_fp_denorm_src 0
		.amdhsa_exception_fp_ieee_div_zero 0
		.amdhsa_exception_fp_ieee_overflow 0
		.amdhsa_exception_fp_ieee_underflow 0
		.amdhsa_exception_fp_ieee_inexact 0
		.amdhsa_exception_int_div_zero 0
	.end_amdhsa_kernel
	.text
.Lfunc_end0:
	.size	fft_rtc_fwd_len1215_factors_5_3_3_3_3_3_wgs_243_tpt_243_halfLds_half_ip_CI_sbrr_dirReg, .Lfunc_end0-fft_rtc_fwd_len1215_factors_5_3_3_3_3_3_wgs_243_tpt_243_halfLds_half_ip_CI_sbrr_dirReg
                                        ; -- End function
	.section	.AMDGPU.csdata,"",@progbits
; Kernel info:
; codeLenInByte = 5924
; NumSgprs: 28
; NumVgprs: 34
; ScratchSize: 0
; MemoryBound: 0
; FloatMode: 240
; IeeeMode: 1
; LDSByteSize: 0 bytes/workgroup (compile time only)
; SGPRBlocks: 3
; VGPRBlocks: 8
; NumSGPRsForWavesPerEU: 28
; NumVGPRsForWavesPerEU: 34
; Occupancy: 7
; WaveLimiterHint : 1
; COMPUTE_PGM_RSRC2:SCRATCH_EN: 0
; COMPUTE_PGM_RSRC2:USER_SGPR: 6
; COMPUTE_PGM_RSRC2:TRAP_HANDLER: 0
; COMPUTE_PGM_RSRC2:TGID_X_EN: 1
; COMPUTE_PGM_RSRC2:TGID_Y_EN: 0
; COMPUTE_PGM_RSRC2:TGID_Z_EN: 0
; COMPUTE_PGM_RSRC2:TIDIG_COMP_CNT: 0
	.type	__hip_cuid_899cc65c7ec8311b,@object ; @__hip_cuid_899cc65c7ec8311b
	.section	.bss,"aw",@nobits
	.globl	__hip_cuid_899cc65c7ec8311b
__hip_cuid_899cc65c7ec8311b:
	.byte	0                               ; 0x0
	.size	__hip_cuid_899cc65c7ec8311b, 1

	.ident	"AMD clang version 19.0.0git (https://github.com/RadeonOpenCompute/llvm-project roc-6.4.0 25133 c7fe45cf4b819c5991fe208aaa96edf142730f1d)"
	.section	".note.GNU-stack","",@progbits
	.addrsig
	.addrsig_sym __hip_cuid_899cc65c7ec8311b
	.amdgpu_metadata
---
amdhsa.kernels:
  - .args:
      - .actual_access:  read_only
        .address_space:  global
        .offset:         0
        .size:           8
        .value_kind:     global_buffer
      - .offset:         8
        .size:           8
        .value_kind:     by_value
      - .actual_access:  read_only
        .address_space:  global
        .offset:         16
        .size:           8
        .value_kind:     global_buffer
      - .actual_access:  read_only
        .address_space:  global
        .offset:         24
        .size:           8
        .value_kind:     global_buffer
      - .offset:         32
        .size:           8
        .value_kind:     by_value
      - .actual_access:  read_only
        .address_space:  global
        .offset:         40
        .size:           8
        .value_kind:     global_buffer
      - .actual_access:  read_only
        .address_space:  global
        .offset:         48
        .size:           8
        .value_kind:     global_buffer
      - .offset:         56
        .size:           4
        .value_kind:     by_value
      - .actual_access:  read_only
        .address_space:  global
        .offset:         64
        .size:           8
        .value_kind:     global_buffer
      - .actual_access:  read_only
        .address_space:  global
        .offset:         72
        .size:           8
        .value_kind:     global_buffer
      - .address_space:  global
        .offset:         80
        .size:           8
        .value_kind:     global_buffer
    .group_segment_fixed_size: 0
    .kernarg_segment_align: 8
    .kernarg_segment_size: 88
    .language:       OpenCL C
    .language_version:
      - 2
      - 0
    .max_flat_workgroup_size: 243
    .name:           fft_rtc_fwd_len1215_factors_5_3_3_3_3_3_wgs_243_tpt_243_halfLds_half_ip_CI_sbrr_dirReg
    .private_segment_fixed_size: 0
    .sgpr_count:     28
    .sgpr_spill_count: 0
    .symbol:         fft_rtc_fwd_len1215_factors_5_3_3_3_3_3_wgs_243_tpt_243_halfLds_half_ip_CI_sbrr_dirReg.kd
    .uniform_work_group_size: 1
    .uses_dynamic_stack: false
    .vgpr_count:     34
    .vgpr_spill_count: 0
    .wavefront_size: 64
amdhsa.target:   amdgcn-amd-amdhsa--gfx906
amdhsa.version:
  - 1
  - 2
...

	.end_amdgpu_metadata
